;; amdgpu-corpus repo=ROCm/rocFFT kind=compiled arch=gfx1201 opt=O3
	.text
	.amdgcn_target "amdgcn-amd-amdhsa--gfx1201"
	.amdhsa_code_object_version 6
	.protected	fft_rtc_back_len1120_factors_2_2_2_2_2_5_7_wgs_224_tpt_224_halfLds_half_op_CI_CI_unitstride_sbrr_C2R_dirReg ; -- Begin function fft_rtc_back_len1120_factors_2_2_2_2_2_5_7_wgs_224_tpt_224_halfLds_half_op_CI_CI_unitstride_sbrr_C2R_dirReg
	.globl	fft_rtc_back_len1120_factors_2_2_2_2_2_5_7_wgs_224_tpt_224_halfLds_half_op_CI_CI_unitstride_sbrr_C2R_dirReg
	.p2align	8
	.type	fft_rtc_back_len1120_factors_2_2_2_2_2_5_7_wgs_224_tpt_224_halfLds_half_op_CI_CI_unitstride_sbrr_C2R_dirReg,@function
fft_rtc_back_len1120_factors_2_2_2_2_2_5_7_wgs_224_tpt_224_halfLds_half_op_CI_CI_unitstride_sbrr_C2R_dirReg: ; @fft_rtc_back_len1120_factors_2_2_2_2_2_5_7_wgs_224_tpt_224_halfLds_half_op_CI_CI_unitstride_sbrr_C2R_dirReg
; %bb.0:
	s_clause 0x2
	s_load_b128 s[8:11], s[0:1], 0x0
	s_load_b128 s[4:7], s[0:1], 0x58
	;; [unrolled: 1-line block ×3, first 2 shown]
	v_mul_u32_u24_e32 v1, 0x125, v0
	v_mov_b32_e32 v8, 0
	v_mov_b32_e32 v6, 0
	;; [unrolled: 1-line block ×3, first 2 shown]
	s_delay_alu instid0(VALU_DEP_4) | instskip(NEXT) | instid1(VALU_DEP_1)
	v_lshrrev_b32_e32 v1, 16, v1
	v_dual_mov_b32 v11, v8 :: v_dual_add_nc_u32 v10, ttmp9, v1
	s_wait_kmcnt 0x0
	v_cmp_lt_u64_e64 s2, s[10:11], 2
	s_delay_alu instid0(VALU_DEP_1)
	s_and_b32 vcc_lo, exec_lo, s2
	s_cbranch_vccnz .LBB0_8
; %bb.1:
	s_load_b64 s[2:3], s[0:1], 0x10
	v_mov_b32_e32 v6, 0
	v_mov_b32_e32 v7, 0
	s_delay_alu instid0(VALU_DEP_2)
	v_mov_b32_e32 v1, v6
	s_add_nc_u64 s[16:17], s[14:15], 8
	s_add_nc_u64 s[18:19], s[12:13], 8
	s_mov_b64 s[20:21], 1
	v_mov_b32_e32 v2, v7
	s_wait_kmcnt 0x0
	s_add_nc_u64 s[22:23], s[2:3], 8
	s_mov_b32 s3, 0
.LBB0_2:                                ; =>This Inner Loop Header: Depth=1
	s_load_b64 s[24:25], s[22:23], 0x0
                                        ; implicit-def: $vgpr3_vgpr4
	s_mov_b32 s2, exec_lo
	s_wait_kmcnt 0x0
	v_or_b32_e32 v9, s25, v11
	s_delay_alu instid0(VALU_DEP_1)
	v_cmpx_ne_u64_e32 0, v[8:9]
	s_wait_alu 0xfffe
	s_xor_b32 s26, exec_lo, s2
	s_cbranch_execz .LBB0_4
; %bb.3:                                ;   in Loop: Header=BB0_2 Depth=1
	s_cvt_f32_u32 s2, s24
	s_cvt_f32_u32 s27, s25
	s_sub_nc_u64 s[30:31], 0, s[24:25]
	s_wait_alu 0xfffe
	s_delay_alu instid0(SALU_CYCLE_1) | instskip(SKIP_1) | instid1(SALU_CYCLE_2)
	s_fmamk_f32 s2, s27, 0x4f800000, s2
	s_wait_alu 0xfffe
	v_s_rcp_f32 s2, s2
	s_delay_alu instid0(TRANS32_DEP_1) | instskip(SKIP_1) | instid1(SALU_CYCLE_2)
	s_mul_f32 s2, s2, 0x5f7ffffc
	s_wait_alu 0xfffe
	s_mul_f32 s27, s2, 0x2f800000
	s_wait_alu 0xfffe
	s_delay_alu instid0(SALU_CYCLE_2) | instskip(SKIP_1) | instid1(SALU_CYCLE_2)
	s_trunc_f32 s27, s27
	s_wait_alu 0xfffe
	s_fmamk_f32 s2, s27, 0xcf800000, s2
	s_cvt_u32_f32 s29, s27
	s_wait_alu 0xfffe
	s_delay_alu instid0(SALU_CYCLE_1) | instskip(SKIP_1) | instid1(SALU_CYCLE_2)
	s_cvt_u32_f32 s28, s2
	s_wait_alu 0xfffe
	s_mul_u64 s[34:35], s[30:31], s[28:29]
	s_wait_alu 0xfffe
	s_mul_hi_u32 s37, s28, s35
	s_mul_i32 s36, s28, s35
	s_mul_hi_u32 s2, s28, s34
	s_mul_i32 s33, s29, s34
	s_wait_alu 0xfffe
	s_add_nc_u64 s[36:37], s[2:3], s[36:37]
	s_mul_hi_u32 s27, s29, s34
	s_mul_hi_u32 s38, s29, s35
	s_add_co_u32 s2, s36, s33
	s_wait_alu 0xfffe
	s_add_co_ci_u32 s2, s37, s27
	s_mul_i32 s34, s29, s35
	s_add_co_ci_u32 s35, s38, 0
	s_wait_alu 0xfffe
	s_add_nc_u64 s[34:35], s[2:3], s[34:35]
	s_wait_alu 0xfffe
	v_add_co_u32 v3, s2, s28, s34
	s_delay_alu instid0(VALU_DEP_1) | instskip(SKIP_1) | instid1(VALU_DEP_1)
	s_cmp_lg_u32 s2, 0
	s_add_co_ci_u32 s29, s29, s35
	v_readfirstlane_b32 s28, v3
	s_wait_alu 0xfffe
	s_delay_alu instid0(VALU_DEP_1)
	s_mul_u64 s[30:31], s[30:31], s[28:29]
	s_wait_alu 0xfffe
	s_mul_hi_u32 s35, s28, s31
	s_mul_i32 s34, s28, s31
	s_mul_hi_u32 s2, s28, s30
	s_mul_i32 s33, s29, s30
	s_wait_alu 0xfffe
	s_add_nc_u64 s[34:35], s[2:3], s[34:35]
	s_mul_hi_u32 s27, s29, s30
	s_mul_hi_u32 s28, s29, s31
	s_wait_alu 0xfffe
	s_add_co_u32 s2, s34, s33
	s_add_co_ci_u32 s2, s35, s27
	s_mul_i32 s30, s29, s31
	s_add_co_ci_u32 s31, s28, 0
	s_wait_alu 0xfffe
	s_add_nc_u64 s[30:31], s[2:3], s[30:31]
	s_wait_alu 0xfffe
	v_add_co_u32 v5, s2, v3, s30
	s_delay_alu instid0(VALU_DEP_1) | instskip(SKIP_1) | instid1(VALU_DEP_1)
	s_cmp_lg_u32 s2, 0
	s_add_co_ci_u32 s2, s29, s31
	v_mul_hi_u32 v9, v10, v5
	s_wait_alu 0xfffe
	v_mad_co_u64_u32 v[3:4], null, v10, s2, 0
	v_mad_co_u64_u32 v[12:13], null, v11, v5, 0
	;; [unrolled: 1-line block ×3, first 2 shown]
	s_delay_alu instid0(VALU_DEP_3) | instskip(SKIP_1) | instid1(VALU_DEP_4)
	v_add_co_u32 v3, vcc_lo, v9, v3
	s_wait_alu 0xfffd
	v_add_co_ci_u32_e32 v4, vcc_lo, 0, v4, vcc_lo
	s_delay_alu instid0(VALU_DEP_2) | instskip(SKIP_1) | instid1(VALU_DEP_2)
	v_add_co_u32 v3, vcc_lo, v3, v12
	s_wait_alu 0xfffd
	v_add_co_ci_u32_e32 v3, vcc_lo, v4, v13, vcc_lo
	s_wait_alu 0xfffd
	v_add_co_ci_u32_e32 v4, vcc_lo, 0, v15, vcc_lo
	s_delay_alu instid0(VALU_DEP_2) | instskip(SKIP_1) | instid1(VALU_DEP_2)
	v_add_co_u32 v5, vcc_lo, v3, v14
	s_wait_alu 0xfffd
	v_add_co_ci_u32_e32 v9, vcc_lo, 0, v4, vcc_lo
	s_delay_alu instid0(VALU_DEP_2) | instskip(SKIP_1) | instid1(VALU_DEP_3)
	v_mul_lo_u32 v12, s25, v5
	v_mad_co_u64_u32 v[3:4], null, s24, v5, 0
	v_mul_lo_u32 v13, s24, v9
	s_delay_alu instid0(VALU_DEP_2) | instskip(NEXT) | instid1(VALU_DEP_2)
	v_sub_co_u32 v3, vcc_lo, v10, v3
	v_add3_u32 v4, v4, v13, v12
	s_delay_alu instid0(VALU_DEP_1) | instskip(SKIP_1) | instid1(VALU_DEP_1)
	v_sub_nc_u32_e32 v12, v11, v4
	s_wait_alu 0xfffd
	v_subrev_co_ci_u32_e64 v12, s2, s25, v12, vcc_lo
	v_add_co_u32 v13, s2, v5, 2
	s_wait_alu 0xf1ff
	v_add_co_ci_u32_e64 v14, s2, 0, v9, s2
	v_sub_co_u32 v15, s2, v3, s24
	v_sub_co_ci_u32_e32 v4, vcc_lo, v11, v4, vcc_lo
	s_wait_alu 0xf1ff
	v_subrev_co_ci_u32_e64 v12, s2, 0, v12, s2
	s_delay_alu instid0(VALU_DEP_3) | instskip(NEXT) | instid1(VALU_DEP_3)
	v_cmp_le_u32_e32 vcc_lo, s24, v15
	v_cmp_eq_u32_e64 s2, s25, v4
	s_wait_alu 0xfffd
	v_cndmask_b32_e64 v15, 0, -1, vcc_lo
	v_cmp_le_u32_e32 vcc_lo, s25, v12
	s_wait_alu 0xfffd
	v_cndmask_b32_e64 v16, 0, -1, vcc_lo
	v_cmp_le_u32_e32 vcc_lo, s24, v3
	;; [unrolled: 3-line block ×3, first 2 shown]
	s_wait_alu 0xfffd
	v_cndmask_b32_e64 v17, 0, -1, vcc_lo
	v_cmp_eq_u32_e32 vcc_lo, s25, v12
	s_wait_alu 0xf1ff
	s_delay_alu instid0(VALU_DEP_2)
	v_cndmask_b32_e64 v3, v17, v3, s2
	s_wait_alu 0xfffd
	v_cndmask_b32_e32 v12, v16, v15, vcc_lo
	v_add_co_u32 v15, vcc_lo, v5, 1
	s_wait_alu 0xfffd
	v_add_co_ci_u32_e32 v16, vcc_lo, 0, v9, vcc_lo
	s_delay_alu instid0(VALU_DEP_3) | instskip(SKIP_2) | instid1(VALU_DEP_3)
	v_cmp_ne_u32_e32 vcc_lo, 0, v12
	s_wait_alu 0xfffd
	v_cndmask_b32_e32 v12, v15, v13, vcc_lo
	v_cndmask_b32_e32 v4, v16, v14, vcc_lo
	v_cmp_ne_u32_e32 vcc_lo, 0, v3
	s_wait_alu 0xfffd
	s_delay_alu instid0(VALU_DEP_3) | instskip(NEXT) | instid1(VALU_DEP_3)
	v_cndmask_b32_e32 v3, v5, v12, vcc_lo
	v_cndmask_b32_e32 v4, v9, v4, vcc_lo
.LBB0_4:                                ;   in Loop: Header=BB0_2 Depth=1
	s_wait_alu 0xfffe
	s_and_not1_saveexec_b32 s2, s26
	s_cbranch_execz .LBB0_6
; %bb.5:                                ;   in Loop: Header=BB0_2 Depth=1
	v_cvt_f32_u32_e32 v3, s24
	s_sub_co_i32 s26, 0, s24
	s_delay_alu instid0(VALU_DEP_1) | instskip(NEXT) | instid1(TRANS32_DEP_1)
	v_rcp_iflag_f32_e32 v3, v3
	v_mul_f32_e32 v3, 0x4f7ffffe, v3
	s_delay_alu instid0(VALU_DEP_1) | instskip(SKIP_1) | instid1(VALU_DEP_1)
	v_cvt_u32_f32_e32 v3, v3
	s_wait_alu 0xfffe
	v_mul_lo_u32 v4, s26, v3
	s_delay_alu instid0(VALU_DEP_1) | instskip(NEXT) | instid1(VALU_DEP_1)
	v_mul_hi_u32 v4, v3, v4
	v_add_nc_u32_e32 v3, v3, v4
	s_delay_alu instid0(VALU_DEP_1) | instskip(NEXT) | instid1(VALU_DEP_1)
	v_mul_hi_u32 v3, v10, v3
	v_mul_lo_u32 v4, v3, s24
	v_add_nc_u32_e32 v5, 1, v3
	s_delay_alu instid0(VALU_DEP_2) | instskip(NEXT) | instid1(VALU_DEP_1)
	v_sub_nc_u32_e32 v4, v10, v4
	v_subrev_nc_u32_e32 v9, s24, v4
	v_cmp_le_u32_e32 vcc_lo, s24, v4
	s_wait_alu 0xfffd
	s_delay_alu instid0(VALU_DEP_2) | instskip(SKIP_1) | instid1(VALU_DEP_2)
	v_cndmask_b32_e32 v4, v4, v9, vcc_lo
	v_cndmask_b32_e32 v3, v3, v5, vcc_lo
	v_cmp_le_u32_e32 vcc_lo, s24, v4
	s_delay_alu instid0(VALU_DEP_2) | instskip(SKIP_1) | instid1(VALU_DEP_1)
	v_dual_mov_b32 v4, v8 :: v_dual_add_nc_u32 v5, 1, v3
	s_wait_alu 0xfffd
	v_cndmask_b32_e32 v3, v3, v5, vcc_lo
.LBB0_6:                                ;   in Loop: Header=BB0_2 Depth=1
	s_wait_alu 0xfffe
	s_or_b32 exec_lo, exec_lo, s2
	v_mul_lo_u32 v5, v4, s24
	s_delay_alu instid0(VALU_DEP_2)
	v_mul_lo_u32 v9, v3, s25
	s_load_b64 s[26:27], s[18:19], 0x0
	v_mad_co_u64_u32 v[12:13], null, v3, s24, 0
	s_load_b64 s[24:25], s[16:17], 0x0
	s_add_nc_u64 s[20:21], s[20:21], 1
	s_add_nc_u64 s[16:17], s[16:17], 8
	s_wait_alu 0xfffe
	v_cmp_ge_u64_e64 s2, s[20:21], s[10:11]
	s_add_nc_u64 s[18:19], s[18:19], 8
	s_add_nc_u64 s[22:23], s[22:23], 8
	v_add3_u32 v5, v13, v9, v5
	v_sub_co_u32 v9, vcc_lo, v10, v12
	s_wait_alu 0xfffd
	s_delay_alu instid0(VALU_DEP_2) | instskip(SKIP_2) | instid1(VALU_DEP_1)
	v_sub_co_ci_u32_e32 v5, vcc_lo, v11, v5, vcc_lo
	s_and_b32 vcc_lo, exec_lo, s2
	s_wait_kmcnt 0x0
	v_mul_lo_u32 v10, s26, v5
	v_mul_lo_u32 v11, s27, v9
	v_mad_co_u64_u32 v[6:7], null, s26, v9, v[6:7]
	v_mul_lo_u32 v5, s24, v5
	v_mul_lo_u32 v12, s25, v9
	v_mad_co_u64_u32 v[1:2], null, s24, v9, v[1:2]
	s_delay_alu instid0(VALU_DEP_4) | instskip(NEXT) | instid1(VALU_DEP_2)
	v_add3_u32 v7, v11, v7, v10
	v_add3_u32 v2, v12, v2, v5
	s_wait_alu 0xfffe
	s_cbranch_vccnz .LBB0_9
; %bb.7:                                ;   in Loop: Header=BB0_2 Depth=1
	v_dual_mov_b32 v11, v4 :: v_dual_mov_b32 v10, v3
	s_branch .LBB0_2
.LBB0_8:
	v_dual_mov_b32 v1, v6 :: v_dual_mov_b32 v2, v7
	v_dual_mov_b32 v3, v10 :: v_dual_mov_b32 v4, v11
.LBB0_9:
	s_load_b64 s[0:1], s[0:1], 0x28
	v_mul_hi_u32 v8, 0x124924a, v0
	s_lshl_b64 s[10:11], s[10:11], 3
                                        ; implicit-def: $vgpr5
	s_wait_alu 0xfffe
	s_add_nc_u64 s[2:3], s[14:15], s[10:11]
	s_wait_kmcnt 0x0
	v_cmp_gt_u64_e32 vcc_lo, s[0:1], v[3:4]
	v_cmp_le_u64_e64 s0, s[0:1], v[3:4]
	s_delay_alu instid0(VALU_DEP_1)
	s_and_saveexec_b32 s1, s0
	s_wait_alu 0xfffe
	s_xor_b32 s0, exec_lo, s1
; %bb.10:
	v_mul_u32_u24_e32 v5, 0xe0, v8
                                        ; implicit-def: $vgpr8
                                        ; implicit-def: $vgpr6_vgpr7
	s_delay_alu instid0(VALU_DEP_1)
	v_sub_nc_u32_e32 v5, v0, v5
                                        ; implicit-def: $vgpr0
; %bb.11:
	s_wait_alu 0xfffe
	s_or_saveexec_b32 s1, s0
	s_load_b64 s[2:3], s[2:3], 0x0
	s_xor_b32 exec_lo, exec_lo, s1
	s_cbranch_execz .LBB0_15
; %bb.12:
	s_add_nc_u64 s[10:11], s[12:13], s[10:11]
	v_lshlrev_b64_e32 v[6:7], 2, v[6:7]
	s_load_b64 s[10:11], s[10:11], 0x0
	s_wait_kmcnt 0x0
	v_mul_lo_u32 v5, s11, v3
	v_mul_lo_u32 v11, s10, v4
	v_mad_co_u64_u32 v[9:10], null, s10, v3, 0
	s_delay_alu instid0(VALU_DEP_1) | instskip(SKIP_1) | instid1(VALU_DEP_2)
	v_add3_u32 v10, v10, v11, v5
	v_mul_u32_u24_e32 v5, 0xe0, v8
	v_lshlrev_b64_e32 v[8:9], 2, v[9:10]
	s_delay_alu instid0(VALU_DEP_2) | instskip(NEXT) | instid1(VALU_DEP_1)
	v_sub_nc_u32_e32 v5, v0, v5
	v_lshlrev_b32_e32 v10, 2, v5
	s_delay_alu instid0(VALU_DEP_3) | instskip(SKIP_1) | instid1(VALU_DEP_4)
	v_add_co_u32 v0, s0, s4, v8
	s_wait_alu 0xf1ff
	v_add_co_ci_u32_e64 v8, s0, s5, v9, s0
	s_mov_b32 s4, exec_lo
	s_delay_alu instid0(VALU_DEP_2) | instskip(SKIP_1) | instid1(VALU_DEP_2)
	v_add_co_u32 v6, s0, v0, v6
	s_wait_alu 0xf1ff
	v_add_co_ci_u32_e64 v7, s0, v8, v7, s0
	s_delay_alu instid0(VALU_DEP_2) | instskip(SKIP_1) | instid1(VALU_DEP_2)
	v_add_co_u32 v8, s0, v6, v10
	s_wait_alu 0xf1ff
	v_add_co_ci_u32_e64 v9, s0, 0, v7, s0
	s_clause 0x4
	global_load_b32 v0, v[8:9], off
	global_load_b32 v11, v[8:9], off offset:896
	global_load_b32 v12, v[8:9], off offset:1792
	;; [unrolled: 1-line block ×4, first 2 shown]
	v_add_nc_u32_e32 v9, 0, v10
	s_delay_alu instid0(VALU_DEP_1)
	v_add_nc_u32_e32 v10, 0x700, v9
	s_wait_loadcnt 0x3
	ds_store_2addr_b32 v9, v0, v11 offset1:224
	s_wait_loadcnt 0x1
	ds_store_2addr_b32 v10, v12, v13 offset1:224
	s_wait_loadcnt 0x0
	ds_store_b32 v9, v8 offset:3584
	v_cmpx_eq_u32_e32 0xdf, v5
	s_cbranch_execz .LBB0_14
; %bb.13:
	global_load_b32 v0, v[6:7], off offset:4480
	v_dual_mov_b32 v6, 0 :: v_dual_mov_b32 v5, 0xdf
	s_wait_loadcnt 0x0
	ds_store_b32 v6, v0 offset:4480
.LBB0_14:
	s_wait_alu 0xfffe
	s_or_b32 exec_lo, exec_lo, s4
.LBB0_15:
	s_delay_alu instid0(SALU_CYCLE_1)
	s_or_b32 exec_lo, exec_lo, s1
	v_lshlrev_b32_e32 v11, 2, v5
	global_wb scope:SCOPE_SE
	s_wait_dscnt 0x0
	s_wait_kmcnt 0x0
	s_barrier_signal -1
	s_barrier_wait -1
	global_inv scope:SCOPE_SE
	v_add_nc_u32_e32 v0, 0, v11
	v_sub_nc_u32_e32 v8, 0, v11
	s_mov_b32 s1, exec_lo
	ds_load_u16 v6, v0
	ds_load_u16 v7, v8 offset:4480
	s_wait_dscnt 0x0
	v_add_f16_e32 v10, v7, v6
	v_sub_f16_e32 v9, v6, v7
                                        ; implicit-def: $vgpr6_vgpr7
	v_cmpx_ne_u32_e32 0, v5
	s_wait_alu 0xfffe
	s_xor_b32 s1, exec_lo, s1
	s_cbranch_execz .LBB0_17
; %bb.16:
	v_mov_b32_e32 v6, 0
	s_delay_alu instid0(VALU_DEP_1) | instskip(NEXT) | instid1(VALU_DEP_1)
	v_lshlrev_b64_e32 v[12:13], 2, v[5:6]
	v_add_co_u32 v12, s0, s8, v12
	s_wait_alu 0xf1ff
	s_delay_alu instid0(VALU_DEP_2)
	v_add_co_ci_u32_e64 v13, s0, s9, v13, s0
	global_load_b32 v7, v[12:13], off offset:4472
	ds_load_u16 v12, v8 offset:4482
	ds_load_u16 v13, v0 offset:2
	s_wait_dscnt 0x0
	v_add_f16_e32 v14, v12, v13
	v_sub_f16_e32 v12, v13, v12
	s_wait_loadcnt 0x0
	v_lshrrev_b32_e32 v15, 16, v7
	s_delay_alu instid0(VALU_DEP_1) | instskip(NEXT) | instid1(VALU_DEP_3)
	v_fma_f16 v13, v9, v15, v10
	v_fma_f16 v16, v14, v15, v12
	v_fma_f16 v10, -v9, v15, v10
	v_fma_f16 v12, v14, v15, -v12
	s_delay_alu instid0(VALU_DEP_4) | instskip(NEXT) | instid1(VALU_DEP_4)
	v_fma_f16 v13, -v7, v14, v13
	v_fmac_f16_e32 v16, v9, v7
	s_delay_alu instid0(VALU_DEP_4) | instskip(NEXT) | instid1(VALU_DEP_4)
	v_fmac_f16_e32 v10, v7, v14
	v_fmac_f16_e32 v12, v9, v7
	v_mov_b32_e32 v7, v6
	v_mov_b32_e32 v6, v5
	v_pack_b32_f16 v9, v13, v16
	s_delay_alu instid0(VALU_DEP_4)
	v_pack_b32_f16 v10, v10, v12
	ds_store_b32 v0, v9
	ds_store_b32 v8, v10 offset:4480
                                        ; implicit-def: $vgpr10
                                        ; implicit-def: $vgpr9
.LBB0_17:
	s_wait_alu 0xfffe
	s_and_not1_saveexec_b32 s0, s1
	s_cbranch_execz .LBB0_19
; %bb.18:
	v_pack_b32_f16 v6, v10, v9
	v_mov_b32_e32 v9, 0
	ds_store_b32 v0, v6
	ds_load_b32 v6, v9 offset:2240
	s_wait_dscnt 0x0
	v_pk_mul_f16 v10, 0xc0004000, v6
	v_mov_b32_e32 v6, 0
	v_mov_b32_e32 v7, 0
	ds_store_b32 v9, v10 offset:2240
.LBB0_19:
	s_wait_alu 0xfffe
	s_or_b32 exec_lo, exec_lo, s0
	v_lshlrev_b64_e32 v[6:7], 2, v[6:7]
	s_add_nc_u64 s[0:1], s[8:9], 0x1178
	s_wait_alu 0xfffe
	s_delay_alu instid0(VALU_DEP_1) | instskip(SKIP_1) | instid1(VALU_DEP_2)
	v_add_co_u32 v6, s0, s0, v6
	s_wait_alu 0xf1ff
	v_add_co_ci_u32_e64 v7, s0, s1, v7, s0
	v_cmp_lt_u32_e64 s0, 0x6f, v5
	v_cmp_gt_u32_e64 s1, 0x70, v5
	global_load_b32 v9, v[6:7], off offset:896
	ds_load_b32 v10, v0 offset:896
	ds_load_b32 v12, v8 offset:3584
	s_wait_dscnt 0x1
	v_lshrrev_b32_e32 v13, 16, v10
	s_wait_dscnt 0x0
	v_lshrrev_b32_e32 v14, 16, v12
	v_add_f16_e32 v15, v10, v12
	v_sub_f16_e32 v10, v10, v12
	s_delay_alu instid0(VALU_DEP_3) | instskip(SKIP_3) | instid1(VALU_DEP_1)
	v_add_f16_e32 v12, v14, v13
	v_sub_f16_e32 v13, v13, v14
	s_wait_loadcnt 0x0
	v_lshrrev_b32_e32 v16, 16, v9
	v_fma_f16 v14, v10, v16, v15
	s_delay_alu instid0(VALU_DEP_3) | instskip(SKIP_2) | instid1(VALU_DEP_4)
	v_fma_f16 v17, v12, v16, v13
	v_fma_f16 v15, -v10, v16, v15
	v_fma_f16 v13, v12, v16, -v13
	v_fma_f16 v14, -v9, v12, v14
	s_delay_alu instid0(VALU_DEP_4) | instskip(NEXT) | instid1(VALU_DEP_4)
	v_fmac_f16_e32 v17, v10, v9
	v_fmac_f16_e32 v15, v9, v12
	s_delay_alu instid0(VALU_DEP_4) | instskip(NEXT) | instid1(VALU_DEP_3)
	v_fmac_f16_e32 v13, v10, v9
	v_pack_b32_f16 v9, v14, v17
	s_delay_alu instid0(VALU_DEP_2)
	v_pack_b32_f16 v10, v15, v13
	ds_store_b32 v0, v9 offset:896
	ds_store_b32 v8, v10 offset:3584
	s_and_saveexec_b32 s4, s1
	s_cbranch_execz .LBB0_21
; %bb.20:
	global_load_b32 v6, v[6:7], off offset:1792
	ds_load_b32 v7, v0 offset:1792
	ds_load_b32 v9, v8 offset:2688
	s_wait_dscnt 0x1
	v_lshrrev_b32_e32 v10, 16, v7
	s_wait_dscnt 0x0
	v_lshrrev_b32_e32 v12, 16, v9
	v_add_f16_e32 v13, v7, v9
	v_sub_f16_e32 v7, v7, v9
	s_delay_alu instid0(VALU_DEP_3) | instskip(SKIP_3) | instid1(VALU_DEP_1)
	v_add_f16_e32 v9, v12, v10
	v_sub_f16_e32 v10, v10, v12
	s_wait_loadcnt 0x0
	v_lshrrev_b32_e32 v14, 16, v6
	v_fma_f16 v12, v7, v14, v13
	s_delay_alu instid0(VALU_DEP_3) | instskip(SKIP_2) | instid1(VALU_DEP_4)
	v_fma_f16 v15, v9, v14, v10
	v_fma_f16 v13, -v7, v14, v13
	v_fma_f16 v10, v9, v14, -v10
	v_fma_f16 v12, -v6, v9, v12
	s_delay_alu instid0(VALU_DEP_4) | instskip(NEXT) | instid1(VALU_DEP_4)
	v_fmac_f16_e32 v15, v7, v6
	v_fmac_f16_e32 v13, v6, v9
	s_delay_alu instid0(VALU_DEP_4) | instskip(NEXT) | instid1(VALU_DEP_3)
	v_fmac_f16_e32 v10, v7, v6
	v_pack_b32_f16 v6, v12, v15
	s_delay_alu instid0(VALU_DEP_2)
	v_pack_b32_f16 v7, v13, v10
	ds_store_b32 v0, v6 offset:1792
	ds_store_b32 v8, v7 offset:2688
.LBB0_21:
	s_wait_alu 0xfffe
	s_or_b32 exec_lo, exec_lo, s4
	v_add_nc_u32_e32 v6, 0x600, v0
	v_add_nc_u32_e32 v10, 0xc00, v0
	global_wb scope:SCOPE_SE
	s_wait_dscnt 0x0
	s_barrier_signal -1
	s_barrier_wait -1
	global_inv scope:SCOPE_SE
	global_wb scope:SCOPE_SE
	s_barrier_signal -1
	s_barrier_wait -1
	global_inv scope:SCOPE_SE
	ds_load_2addr_b32 v[6:7], v6 offset0:64 offset1:176
	ds_load_2addr_b32 v[8:9], v0 offset1:224
	ds_load_2addr_b32 v[13:14], v10 offset0:16 offset1:240
	v_add_nc_u32_e32 v10, 0xe0, v5
	v_add_nc_u32_e32 v16, 0x1c0, v5
	;; [unrolled: 1-line block ×3, first 2 shown]
	global_wb scope:SCOPE_SE
	s_wait_dscnt 0x0
	s_barrier_signal -1
	v_lshl_add_u32 v17, v10, 3, 0
	s_barrier_wait -1
	global_inv scope:SCOPE_SE
	v_pk_add_f16 v7, v8, v7 neg_lo:[0,1] neg_hi:[0,1]
	v_pk_add_f16 v15, v6, v14 neg_lo:[0,1] neg_hi:[0,1]
	;; [unrolled: 1-line block ×3, first 2 shown]
	s_delay_alu instid0(VALU_DEP_3) | instskip(NEXT) | instid1(VALU_DEP_3)
	v_pk_fma_f16 v8, v8, 2.0, v7 op_sel_hi:[1,0,1] neg_lo:[0,0,1] neg_hi:[0,0,1]
	v_pk_fma_f16 v14, v6, 2.0, v15 op_sel_hi:[1,0,1] neg_lo:[0,0,1] neg_hi:[0,0,1]
	s_delay_alu instid0(VALU_DEP_3)
	v_pk_fma_f16 v9, v9, 2.0, v13 op_sel_hi:[1,0,1] neg_lo:[0,0,1] neg_hi:[0,0,1]
	ds_store_2addr_b32 v12, v8, v7 offset1:1
	ds_store_2addr_b32 v17, v9, v13 offset1:1
	s_and_saveexec_b32 s4, s1
	s_cbranch_execz .LBB0_23
; %bb.22:
	v_lshl_add_u32 v6, v16, 3, 0
	ds_store_2addr_b32 v6, v14, v15 offset1:1
.LBB0_23:
	s_wait_alu 0xfffe
	s_or_b32 exec_lo, exec_lo, s4
	v_add_nc_u32_e32 v8, 0x880, v0
	global_wb scope:SCOPE_SE
	s_wait_dscnt 0x0
	s_barrier_signal -1
	s_barrier_wait -1
	global_inv scope:SCOPE_SE
	ds_load_2addr_b32 v[6:7], v0 offset1:224
	ds_load_2addr_b32 v[8:9], v8 offset0:16 offset1:240
                                        ; implicit-def: $vgpr17
	s_and_saveexec_b32 s4, s0
	s_wait_alu 0xfffe
	s_xor_b32 s4, exec_lo, s4
; %bb.24:
	v_lshrrev_b32_e32 v17, 16, v15
; %bb.25:
	s_wait_alu 0xfffe
	s_or_saveexec_b32 s4, s4
	v_lshlrev_b32_e32 v10, 1, v10
	v_sub_nc_u32_e32 v13, v12, v11
	s_wait_alu 0xfffe
	s_xor_b32 exec_lo, exec_lo, s4
	s_cbranch_execz .LBB0_27
; %bb.26:
	ds_load_b32 v15, v0 offset:4032
	ds_load_b32 v14, v13 offset:1792
	s_wait_dscnt 0x1
	v_lshrrev_b32_e32 v17, 16, v15
.LBB0_27:
	s_or_b32 exec_lo, exec_lo, s4
	v_and_b32_e32 v18, 1, v5
	v_lshlrev_b32_e32 v12, 1, v5
	s_wait_dscnt 0x0
	v_lshrrev_b32_e32 v20, 16, v14
	s_delay_alu instid0(VALU_DEP_3) | instskip(NEXT) | instid1(VALU_DEP_3)
	v_lshlrev_b32_e32 v11, 2, v18
	v_and_or_b32 v21, 0x1fc, v12, v18
	v_and_or_b32 v22, 0x3fc, v10, v18
	global_load_b32 v19, v11, s[8:9]
	v_lshlrev_b32_e32 v11, 1, v16
	v_lshl_add_u32 v21, v21, 2, 0
	v_lshl_add_u32 v22, v22, 2, 0
	global_wb scope:SCOPE_SE
	s_wait_loadcnt 0x0
	s_barrier_signal -1
	s_barrier_wait -1
	global_inv scope:SCOPE_SE
	v_pk_mul_f16 v16, v19, v9 op_sel:[0,1]
	v_pk_mul_f16 v23, v19, v8 op_sel:[0,1]
	v_lshrrev_b32_e32 v24, 16, v19
	s_delay_alu instid0(VALU_DEP_3) | instskip(SKIP_1) | instid1(VALU_DEP_4)
	v_pk_fma_f16 v25, v19, v9, v16 op_sel:[0,0,1] op_sel_hi:[1,1,0]
	v_pk_fma_f16 v9, v19, v9, v16 op_sel:[0,0,1] op_sel_hi:[1,0,0] neg_lo:[1,0,0] neg_hi:[1,0,0]
	v_pk_fma_f16 v16, v19, v8, v23 op_sel:[0,0,1] op_sel_hi:[1,1,0]
	v_pk_fma_f16 v8, v19, v8, v23 op_sel:[0,0,1] op_sel_hi:[1,0,0] neg_lo:[1,0,0] neg_hi:[1,0,0]
	v_mul_f16_e32 v23, v17, v24
	v_mul_f16_e32 v24, v15, v24
	v_bfi_b32 v9, 0xffff, v25, v9
	s_delay_alu instid0(VALU_DEP_4) | instskip(NEXT) | instid1(VALU_DEP_4)
	v_bfi_b32 v8, 0xffff, v16, v8
	v_fmac_f16_e32 v23, v15, v19
	s_delay_alu instid0(VALU_DEP_4) | instskip(NEXT) | instid1(VALU_DEP_4)
	v_fma_f16 v16, v17, v19, -v24
	v_pk_add_f16 v9, v7, v9 neg_lo:[0,1] neg_hi:[0,1]
	s_delay_alu instid0(VALU_DEP_4) | instskip(NEXT) | instid1(VALU_DEP_4)
	v_pk_add_f16 v8, v6, v8 neg_lo:[0,1] neg_hi:[0,1]
	v_sub_f16_e32 v15, v14, v23
	s_delay_alu instid0(VALU_DEP_4) | instskip(NEXT) | instid1(VALU_DEP_4)
	v_sub_f16_e32 v16, v20, v16
	v_pk_fma_f16 v7, v7, 2.0, v9 op_sel_hi:[1,0,1] neg_lo:[0,0,1] neg_hi:[0,0,1]
	s_delay_alu instid0(VALU_DEP_4) | instskip(NEXT) | instid1(VALU_DEP_4)
	v_pk_fma_f16 v6, v6, 2.0, v8 op_sel_hi:[1,0,1] neg_lo:[0,0,1] neg_hi:[0,0,1]
	v_fma_f16 v14, v14, 2.0, -v15
	s_delay_alu instid0(VALU_DEP_4)
	v_fma_f16 v19, v20, 2.0, -v16
	ds_store_2addr_b32 v21, v6, v8 offset1:2
	ds_store_2addr_b32 v22, v7, v9 offset1:2
	s_and_saveexec_b32 s4, s1
	s_cbranch_execz .LBB0_29
; %bb.28:
	v_and_or_b32 v6, 0x7fc, v11, v18
	v_perm_b32 v7, v19, v14, 0x5040100
	v_perm_b32 v8, v16, v15, 0x5040100
	s_delay_alu instid0(VALU_DEP_3)
	v_lshl_add_u32 v6, v6, 2, 0
	ds_store_2addr_b32 v6, v7, v8 offset1:2
.LBB0_29:
	s_wait_alu 0xfffe
	s_or_b32 exec_lo, exec_lo, s4
	v_add_nc_u32_e32 v8, 0x880, v0
	global_wb scope:SCOPE_SE
	s_wait_dscnt 0x0
	s_barrier_signal -1
	s_barrier_wait -1
	global_inv scope:SCOPE_SE
	ds_load_2addr_b32 v[6:7], v0 offset1:224
	ds_load_2addr_b32 v[8:9], v8 offset0:16 offset1:240
                                        ; implicit-def: $vgpr17
	s_and_saveexec_b32 s4, s0
	s_wait_alu 0xfffe
	s_xor_b32 s4, exec_lo, s4
; %bb.30:
	v_lshlrev_b32_e32 v17, 16, v19
	v_and_b32_e32 v14, 0xffff, v14
	s_delay_alu instid0(VALU_DEP_1)
	v_or_b32_e32 v17, v17, v14
; %bb.31:
	s_wait_alu 0xfffe
	s_and_not1_saveexec_b32 s4, s4
	s_cbranch_execz .LBB0_33
; %bb.32:
	ds_load_b32 v15, v0 offset:4032
	ds_load_b32 v17, v13 offset:1792
	s_wait_dscnt 0x1
	v_lshrrev_b32_e32 v16, 16, v15
.LBB0_33:
	s_wait_alu 0xfffe
	s_or_b32 exec_lo, exec_lo, s4
	v_and_b32_e32 v18, 3, v5
	s_wait_dscnt 0x0
	v_lshrrev_b32_e32 v20, 16, v17
	s_delay_alu instid0(VALU_DEP_2)
	v_lshlrev_b32_e32 v14, 2, v18
	v_and_or_b32 v19, 0x1f8, v12, v18
	v_and_or_b32 v22, 0x3f8, v10, v18
	global_load_b32 v14, v14, s[8:9] offset:8
	v_lshl_add_u32 v24, v19, 2, 0
	v_lshl_add_u32 v22, v22, 2, 0
	global_wb scope:SCOPE_SE
	s_wait_loadcnt 0x0
	s_barrier_signal -1
	s_barrier_wait -1
	global_inv scope:SCOPE_SE
	v_pk_mul_f16 v21, v14, v9 op_sel:[0,1]
	v_pk_mul_f16 v23, v14, v8 op_sel:[0,1]
	v_lshrrev_b32_e32 v19, 16, v14
	s_delay_alu instid0(VALU_DEP_3) | instskip(SKIP_1) | instid1(VALU_DEP_4)
	v_pk_fma_f16 v25, v14, v9, v21 op_sel:[0,0,1] op_sel_hi:[1,1,0]
	v_pk_fma_f16 v9, v14, v9, v21 op_sel:[0,0,1] op_sel_hi:[1,0,0] neg_lo:[1,0,0] neg_hi:[1,0,0]
	v_pk_fma_f16 v21, v14, v8, v23 op_sel:[0,0,1] op_sel_hi:[1,1,0]
	v_pk_fma_f16 v8, v14, v8, v23 op_sel:[0,0,1] op_sel_hi:[1,0,0] neg_lo:[1,0,0] neg_hi:[1,0,0]
	v_mul_f16_e32 v23, v16, v19
	v_mul_f16_e32 v19, v15, v19
	v_bfi_b32 v9, 0xffff, v25, v9
	s_delay_alu instid0(VALU_DEP_4) | instskip(NEXT) | instid1(VALU_DEP_4)
	v_bfi_b32 v8, 0xffff, v21, v8
	v_fmac_f16_e32 v23, v15, v14
	s_delay_alu instid0(VALU_DEP_4) | instskip(NEXT) | instid1(VALU_DEP_4)
	v_fma_f16 v15, v16, v14, -v19
	v_pk_add_f16 v9, v7, v9 neg_lo:[0,1] neg_hi:[0,1]
	s_delay_alu instid0(VALU_DEP_4) | instskip(NEXT) | instid1(VALU_DEP_4)
	v_pk_add_f16 v8, v6, v8 neg_lo:[0,1] neg_hi:[0,1]
	v_sub_f16_e32 v14, v17, v23
	s_delay_alu instid0(VALU_DEP_4) | instskip(NEXT) | instid1(VALU_DEP_4)
	v_sub_f16_e32 v15, v20, v15
	v_pk_fma_f16 v7, v7, 2.0, v9 op_sel_hi:[1,0,1] neg_lo:[0,0,1] neg_hi:[0,0,1]
	s_delay_alu instid0(VALU_DEP_4) | instskip(NEXT) | instid1(VALU_DEP_4)
	v_pk_fma_f16 v6, v6, 2.0, v8 op_sel_hi:[1,0,1] neg_lo:[0,0,1] neg_hi:[0,0,1]
	v_fma_f16 v17, v17, 2.0, -v14
	s_delay_alu instid0(VALU_DEP_4)
	v_fma_f16 v19, v20, 2.0, -v15
	ds_store_2addr_b32 v24, v6, v8 offset1:4
	ds_store_2addr_b32 v22, v7, v9 offset1:4
	s_and_saveexec_b32 s4, s1
	s_cbranch_execz .LBB0_35
; %bb.34:
	v_and_or_b32 v6, 0x7f8, v11, v18
	v_perm_b32 v7, v19, v17, 0x5040100
	v_perm_b32 v8, v15, v14, 0x5040100
	s_delay_alu instid0(VALU_DEP_3)
	v_lshl_add_u32 v6, v6, 2, 0
	ds_store_2addr_b32 v6, v7, v8 offset1:4
.LBB0_35:
	s_wait_alu 0xfffe
	s_or_b32 exec_lo, exec_lo, s4
	v_add_nc_u32_e32 v8, 0x880, v0
	global_wb scope:SCOPE_SE
	s_wait_dscnt 0x0
	s_barrier_signal -1
	s_barrier_wait -1
	global_inv scope:SCOPE_SE
	ds_load_2addr_b32 v[6:7], v0 offset1:224
	ds_load_2addr_b32 v[8:9], v8 offset0:16 offset1:240
                                        ; implicit-def: $vgpr16
	s_and_saveexec_b32 s4, s0
	s_wait_alu 0xfffe
	s_xor_b32 s4, exec_lo, s4
; %bb.36:
	v_lshlrev_b32_e32 v13, 16, v19
	v_and_b32_e32 v16, 0xffff, v17
	s_delay_alu instid0(VALU_DEP_1)
	v_or_b32_e32 v16, v13, v16
                                        ; implicit-def: $vgpr13
; %bb.37:
	s_wait_alu 0xfffe
	s_and_not1_saveexec_b32 s4, s4
	s_cbranch_execz .LBB0_39
; %bb.38:
	ds_load_b32 v14, v0 offset:4032
	ds_load_b32 v16, v13 offset:1792
	s_wait_dscnt 0x1
	v_lshrrev_b32_e32 v15, 16, v14
.LBB0_39:
	s_wait_alu 0xfffe
	s_or_b32 exec_lo, exec_lo, s4
	v_and_b32_e32 v18, 7, v5
	s_wait_dscnt 0x0
	v_lshrrev_b32_e32 v19, 16, v16
	s_delay_alu instid0(VALU_DEP_2)
	v_lshlrev_b32_e32 v13, 2, v18
	v_and_or_b32 v17, 0x1f0, v12, v18
	v_and_or_b32 v21, 0x3f0, v10, v18
	global_load_b32 v13, v13, s[8:9] offset:24
	v_lshl_add_u32 v23, v17, 2, 0
	v_lshl_add_u32 v21, v21, 2, 0
	global_wb scope:SCOPE_SE
	s_wait_loadcnt 0x0
	s_barrier_signal -1
	s_barrier_wait -1
	global_inv scope:SCOPE_SE
	v_pk_mul_f16 v20, v13, v9 op_sel:[0,1]
	v_pk_mul_f16 v22, v13, v8 op_sel:[0,1]
	v_lshrrev_b32_e32 v17, 16, v13
	s_delay_alu instid0(VALU_DEP_3) | instskip(SKIP_1) | instid1(VALU_DEP_4)
	v_pk_fma_f16 v24, v13, v9, v20 op_sel:[0,0,1] op_sel_hi:[1,1,0]
	v_pk_fma_f16 v9, v13, v9, v20 op_sel:[0,0,1] op_sel_hi:[1,0,0] neg_lo:[1,0,0] neg_hi:[1,0,0]
	v_pk_fma_f16 v20, v13, v8, v22 op_sel:[0,0,1] op_sel_hi:[1,1,0]
	v_pk_fma_f16 v8, v13, v8, v22 op_sel:[0,0,1] op_sel_hi:[1,0,0] neg_lo:[1,0,0] neg_hi:[1,0,0]
	v_mul_f16_e32 v22, v15, v17
	v_mul_f16_e32 v17, v14, v17
	v_bfi_b32 v9, 0xffff, v24, v9
	s_delay_alu instid0(VALU_DEP_4) | instskip(NEXT) | instid1(VALU_DEP_4)
	v_bfi_b32 v8, 0xffff, v20, v8
	v_fmac_f16_e32 v22, v14, v13
	s_delay_alu instid0(VALU_DEP_4) | instskip(NEXT) | instid1(VALU_DEP_4)
	v_fma_f16 v14, v15, v13, -v17
	v_pk_add_f16 v9, v7, v9 neg_lo:[0,1] neg_hi:[0,1]
	s_delay_alu instid0(VALU_DEP_4) | instskip(NEXT) | instid1(VALU_DEP_4)
	v_pk_add_f16 v8, v6, v8 neg_lo:[0,1] neg_hi:[0,1]
	v_sub_f16_e32 v13, v16, v22
	s_delay_alu instid0(VALU_DEP_4) | instskip(NEXT) | instid1(VALU_DEP_4)
	v_sub_f16_e32 v17, v19, v14
	v_pk_fma_f16 v7, v7, 2.0, v9 op_sel_hi:[1,0,1] neg_lo:[0,0,1] neg_hi:[0,0,1]
	s_delay_alu instid0(VALU_DEP_4) | instskip(NEXT) | instid1(VALU_DEP_4)
	v_pk_fma_f16 v6, v6, 2.0, v8 op_sel_hi:[1,0,1] neg_lo:[0,0,1] neg_hi:[0,0,1]
	v_fma_f16 v15, v16, 2.0, -v13
	s_delay_alu instid0(VALU_DEP_4)
	v_fma_f16 v16, v19, 2.0, -v17
	ds_store_2addr_b32 v23, v6, v8 offset1:8
	ds_store_2addr_b32 v21, v7, v9 offset1:8
	s_and_saveexec_b32 s4, s1
	s_cbranch_execz .LBB0_41
; %bb.40:
	v_and_or_b32 v6, 0x7f0, v11, v18
	v_perm_b32 v7, v16, v15, 0x5040100
	v_perm_b32 v8, v17, v13, 0x5040100
	s_delay_alu instid0(VALU_DEP_3)
	v_lshl_add_u32 v6, v6, 2, 0
	ds_store_2addr_b32 v6, v7, v8 offset1:8
.LBB0_41:
	s_wait_alu 0xfffe
	s_or_b32 exec_lo, exec_lo, s4
	v_add_nc_u32_e32 v6, 0x880, v0
	global_wb scope:SCOPE_SE
	s_wait_dscnt 0x0
	s_barrier_signal -1
	s_barrier_wait -1
	global_inv scope:SCOPE_SE
	ds_load_2addr_b32 v[8:9], v0 offset1:224
	ds_load_2addr_b32 v[6:7], v6 offset0:16 offset1:240
                                        ; implicit-def: $vgpr14
	s_and_saveexec_b32 s1, s0
	s_wait_alu 0xfffe
	s_xor_b32 s1, exec_lo, s1
; %bb.42:
	v_lshlrev_b32_e32 v14, 16, v16
	v_and_b32_e32 v15, 0xffff, v15
	s_delay_alu instid0(VALU_DEP_1)
	v_or_b32_e32 v14, v14, v15
; %bb.43:
	s_wait_alu 0xfffe
	s_and_not1_saveexec_b32 s1, s1
	s_cbranch_execz .LBB0_45
; %bb.44:
	ds_load_b32 v13, v0 offset:4032
	ds_load_b32 v14, v0 offset:1792
	s_wait_dscnt 0x1
	v_lshrrev_b32_e32 v17, 16, v13
.LBB0_45:
	s_wait_alu 0xfffe
	s_or_b32 exec_lo, exec_lo, s1
	v_and_b32_e32 v15, 15, v5
	s_delay_alu instid0(VALU_DEP_1)
	v_lshlrev_b32_e32 v16, 2, v15
	v_and_or_b32 v12, 0x1e0, v12, v15
	v_and_or_b32 v10, 0x3e0, v10, v15
	global_load_b32 v16, v16, s[8:9] offset:56
	v_lshl_add_u32 v12, v12, 2, 0
	v_lshl_add_u32 v10, v10, 2, 0
	global_wb scope:SCOPE_SE
	s_wait_loadcnt_dscnt 0x0
	s_barrier_signal -1
	s_barrier_wait -1
	global_inv scope:SCOPE_SE
	v_pk_mul_f16 v17, v17, v16 op_sel_hi:[0,1]
	v_pk_mul_f16 v18, v16, v6 op_sel:[0,1]
	v_pk_mul_f16 v19, v16, v7 op_sel:[0,1]
	s_delay_alu instid0(VALU_DEP_3) | instskip(NEXT) | instid1(VALU_DEP_3)
	v_pk_fma_f16 v20, v13, v16, v17 op_sel:[0,0,1] op_sel_hi:[1,1,0]
	v_pk_fma_f16 v21, v16, v6, v18 op_sel:[0,0,1] op_sel_hi:[1,1,0]
	v_pk_fma_f16 v6, v16, v6, v18 op_sel:[0,0,1] op_sel_hi:[1,0,0] neg_lo:[1,0,0] neg_hi:[1,0,0]
	s_delay_alu instid0(VALU_DEP_4) | instskip(SKIP_2) | instid1(VALU_DEP_4)
	v_pk_fma_f16 v18, v16, v7, v19 op_sel:[0,0,1] op_sel_hi:[1,1,0]
	v_pk_fma_f16 v7, v16, v7, v19 op_sel:[0,0,1] op_sel_hi:[1,0,0] neg_lo:[1,0,0] neg_hi:[1,0,0]
	v_pk_fma_f16 v13, v13, v16, v17 op_sel:[0,0,1] op_sel_hi:[0,1,0] neg_lo:[1,0,0] neg_hi:[1,0,0]
	v_bfi_b32 v6, 0xffff, v21, v6
	s_delay_alu instid0(VALU_DEP_3) | instskip(NEXT) | instid1(VALU_DEP_3)
	v_bfi_b32 v7, 0xffff, v18, v7
	v_bfi_b32 v13, 0xffff, v20, v13
	s_delay_alu instid0(VALU_DEP_3) | instskip(NEXT) | instid1(VALU_DEP_3)
	v_pk_add_f16 v6, v8, v6 neg_lo:[0,1] neg_hi:[0,1]
	v_pk_add_f16 v16, v9, v7 neg_lo:[0,1] neg_hi:[0,1]
	s_delay_alu instid0(VALU_DEP_3) | instskip(NEXT) | instid1(VALU_DEP_3)
	v_pk_add_f16 v7, v14, v13 neg_lo:[0,1] neg_hi:[0,1]
	v_pk_fma_f16 v8, v8, 2.0, v6 op_sel_hi:[1,0,1] neg_lo:[0,0,1] neg_hi:[0,0,1]
	s_delay_alu instid0(VALU_DEP_3) | instskip(NEXT) | instid1(VALU_DEP_3)
	v_pk_fma_f16 v9, v9, 2.0, v16 op_sel_hi:[1,0,1] neg_lo:[0,0,1] neg_hi:[0,0,1]
	v_lshrrev_b32_e32 v13, 16, v7
	ds_store_2addr_b32 v12, v8, v6 offset1:16
	ds_store_2addr_b32 v10, v9, v16 offset1:16
	s_and_saveexec_b32 s1, s0
	s_wait_alu 0xfffe
	s_xor_b32 s0, exec_lo, s1
; %bb.46:
                                        ; implicit-def: $vgpr11
                                        ; implicit-def: $vgpr15
                                        ; implicit-def: $vgpr14
; %bb.47:
	s_wait_alu 0xfffe
	s_and_not1_saveexec_b32 s0, s0
	s_cbranch_execz .LBB0_49
; %bb.48:
	v_and_or_b32 v6, 0x7e0, v11, v15
	v_pk_fma_f16 v8, v14, 2.0, v7 op_sel_hi:[1,0,1] neg_lo:[0,0,1] neg_hi:[0,0,1]
	s_delay_alu instid0(VALU_DEP_2)
	v_lshl_add_u32 v6, v6, 2, 0
	ds_store_2addr_b32 v6, v8, v7 offset1:16
.LBB0_49:
	s_wait_alu 0xfffe
	s_or_b32 exec_lo, exec_lo, s0
	v_and_b32_e32 v6, 31, v5
	global_wb scope:SCOPE_SE
	s_wait_dscnt 0x0
	s_barrier_signal -1
	s_barrier_wait -1
	global_inv scope:SCOPE_SE
	v_lshlrev_b32_e32 v8, 4, v6
	v_add_nc_u32_e32 v10, 0x700, v0
	v_lshrrev_b32_e32 v14, 5, v5
	v_cmp_gt_u32_e64 s0, 0xa0, v5
	global_load_b128 v[15:18], v8, s[8:9] offset:120
	ds_load_2addr_b32 v[8:9], v0 offset1:224
	ds_load_b32 v12, v0 offset:3584
	ds_load_2addr_b32 v[10:11], v10 offset1:224
	v_mul_u32_u24_e32 v14, 0xa0, v14
	s_delay_alu instid0(VALU_DEP_1)
	v_or_b32_e32 v6, v14, v6
	ds_load_u16 v14, v0 offset:2
	global_wb scope:SCOPE_SE
	s_wait_loadcnt_dscnt 0x0
	s_barrier_signal -1
	s_barrier_wait -1
	v_lshl_add_u32 v19, v6, 2, 0
	global_inv scope:SCOPE_SE
	v_lshrrev_b32_e32 v6, 16, v9
	v_lshrrev_b32_e32 v20, 16, v12
	;; [unrolled: 1-line block ×8, first 2 shown]
	s_delay_alu instid0(VALU_DEP_4)
	v_mul_f16_e32 v27, v22, v6
	v_mul_f16_e32 v22, v22, v9
	;; [unrolled: 1-line block ×8, first 2 shown]
	v_fmac_f16_e32 v27, v15, v9
	v_fma_f16 v6, v15, v6, -v22
	v_fmac_f16_e32 v28, v16, v10
	v_fma_f16 v9, v16, v21, -v24
	;; [unrolled: 2-line block ×4, first 2 shown]
	v_add_f16_e32 v10, v27, v8
	v_add_f16_e32 v11, v28, v29
	v_sub_f16_e32 v17, v27, v28
	v_sub_f16_e32 v18, v30, v29
	v_add_f16_e32 v24, v14, v6
	v_add_f16_e32 v25, v9, v16
	;; [unrolled: 1-line block ×4, first 2 shown]
	v_sub_f16_e32 v12, v6, v15
	v_sub_f16_e32 v20, v9, v16
	;; [unrolled: 1-line block ×7, first 2 shown]
	v_add_f16_e32 v10, v10, v28
	v_fma_f16 v6, -0.5, v11, v8
	v_add_f16_e32 v28, v17, v18
	v_add_f16_e32 v9, v24, v9
	v_fma_f16 v17, -0.5, v25, v14
	v_fmac_f16_e32 v8, -0.5, v21
	v_fmac_f16_e32 v14, -0.5, v33
	v_sub_f16_e32 v23, v29, v30
	v_sub_f16_e32 v32, v15, v16
	;; [unrolled: 1-line block ×3, first 2 shown]
	v_add_f16_e32 v24, v10, v29
	v_fmamk_f16 v10, v12, 0xbb9c, v6
	v_add_f16_e32 v25, v9, v16
	v_fmamk_f16 v16, v26, 0x3b9c, v17
	v_fmamk_f16 v11, v20, 0x3b9c, v8
	v_fmac_f16_e32 v8, 0xbb9c, v20
	v_fmamk_f16 v18, v27, 0xbb9c, v14
	v_fmac_f16_e32 v14, 0x3b9c, v27
	v_fmac_f16_e32 v6, 0x3b9c, v12
	;; [unrolled: 1-line block ×3, first 2 shown]
	v_add_f16_e32 v21, v22, v23
	v_add_f16_e32 v22, v31, v32
	v_fmac_f16_e32 v10, 0xb8b4, v20
	v_fmac_f16_e32 v16, 0x38b4, v27
	v_add_f16_e32 v23, v34, v35
	v_fmac_f16_e32 v11, 0xb8b4, v12
	v_fmac_f16_e32 v8, 0x38b4, v12
	;; [unrolled: 1-line block ×6, first 2 shown]
	v_add_f16_e32 v9, v24, v30
	v_add_f16_e32 v15, v25, v15
	v_fmac_f16_e32 v10, 0x34f2, v28
	v_fmac_f16_e32 v16, 0x34f2, v22
	;; [unrolled: 1-line block ×8, first 2 shown]
	v_pack_b32_f16 v12, v9, v15
	v_pack_b32_f16 v20, v10, v16
	;; [unrolled: 1-line block ×5, first 2 shown]
	ds_store_2addr_b32 v19, v12, v20 offset1:32
	ds_store_2addr_b32 v19, v21, v22 offset0:64 offset1:96
	ds_store_b32 v19, v23 offset:512
	global_wb scope:SCOPE_SE
	s_wait_dscnt 0x0
	s_barrier_signal -1
	s_barrier_wait -1
	global_inv scope:SCOPE_SE
                                        ; implicit-def: $vgpr20
                                        ; implicit-def: $vgpr19
	s_and_saveexec_b32 s1, s0
	s_cbranch_execz .LBB0_51
; %bb.50:
	v_add_nc_u32_e32 v6, 0x400, v0
	v_add_nc_u32_e32 v7, 0xa00, v0
	ds_load_2addr_b32 v[9:10], v0 offset1:160
	ds_load_b32 v19, v0 offset:3840
	ds_load_2addr_b32 v[11:12], v6 offset0:64 offset1:224
	ds_load_2addr_b32 v[6:7], v7 offset1:160
	s_wait_dscnt 0x3
	v_lshrrev_b32_e32 v15, 16, v9
	s_wait_dscnt 0x1
	v_mov_b32_e32 v8, v12
	v_lshrrev_b32_e32 v16, 16, v10
	v_lshrrev_b32_e32 v20, 16, v19
	;; [unrolled: 1-line block ×4, first 2 shown]
	s_wait_dscnt 0x0
	v_lshrrev_b32_e32 v17, 16, v6
	v_lshrrev_b32_e32 v13, 16, v7
.LBB0_51:
	s_wait_alu 0xfffe
	s_or_b32 exec_lo, exec_lo, s1
	global_wb scope:SCOPE_SE
	s_barrier_signal -1
	s_barrier_wait -1
	global_inv scope:SCOPE_SE
	s_and_saveexec_b32 s1, s0
	s_cbranch_execz .LBB0_53
; %bb.52:
	v_add_nc_u32_e32 v12, 0xffffff60, v5
	v_dual_mov_b32 v22, 0 :: v_dual_add_nc_u32 v27, 0xa00, v0
	s_delay_alu instid0(VALU_DEP_2) | instskip(NEXT) | instid1(VALU_DEP_1)
	v_cndmask_b32_e64 v12, v12, v5, s0
	v_mul_i32_i24_e32 v21, 6, v12
	v_add_nc_u32_e32 v12, 0x400, v0
	s_delay_alu instid0(VALU_DEP_2) | instskip(NEXT) | instid1(VALU_DEP_1)
	v_lshlrev_b64_e32 v[21:22], 2, v[21:22]
	v_add_co_u32 v25, s0, s8, v21
	s_wait_alu 0xf1ff
	s_delay_alu instid0(VALU_DEP_2)
	v_add_co_ci_u32_e64 v26, s0, s9, v22, s0
	s_clause 0x1
	global_load_b128 v[21:24], v[25:26], off offset:632
	global_load_b64 v[25:26], v[25:26], off offset:648
	s_wait_loadcnt 0x1
	v_lshrrev_b32_e32 v28, 16, v21
	v_lshrrev_b32_e32 v29, 16, v22
	s_wait_loadcnt 0x0
	v_lshrrev_b32_e32 v30, 16, v26
	v_lshrrev_b32_e32 v31, 16, v24
	;; [unrolled: 1-line block ×4, first 2 shown]
	v_mul_f16_e32 v34, v16, v28
	v_mul_f16_e32 v35, v20, v30
	;; [unrolled: 1-line block ×12, first 2 shown]
	v_fmac_f16_e32 v34, v10, v21
	v_fmac_f16_e32 v35, v19, v26
	;; [unrolled: 1-line block ×5, first 2 shown]
	v_fma_f16 v6, v20, v26, -v30
	v_fma_f16 v7, v16, v21, -v28
	;; [unrolled: 1-line block ×4, first 2 shown]
	v_fmac_f16_e32 v37, v8, v23
	v_fma_f16 v8, v14, v23, -v32
	v_fma_f16 v10, v17, v24, -v31
	v_add_f16_e32 v18, v7, v6
	v_add_f16_e32 v20, v13, v11
	;; [unrolled: 1-line block ×4, first 2 shown]
	v_sub_f16_e32 v14, v34, v35
	v_sub_f16_e32 v16, v36, v37
	;; [unrolled: 1-line block ×3, first 2 shown]
	v_add_f16_e32 v19, v8, v10
	v_add_f16_e32 v22, v37, v36
	v_sub_f16_e32 v6, v7, v6
	v_sub_f16_e32 v7, v10, v8
	;; [unrolled: 1-line block ×3, first 2 shown]
	v_add_f16_e32 v25, v20, v18
	v_add_f16_e32 v29, v23, v21
	v_sub_f16_e32 v10, v14, v16
	v_sub_f16_e32 v11, v16, v17
	v_add_f16_e32 v13, v16, v17
	v_sub_f16_e32 v16, v18, v19
	v_sub_f16_e32 v24, v19, v20
	;; [unrolled: 1-line block ×6, first 2 shown]
	v_add_f16_e32 v7, v7, v8
	v_sub_f16_e32 v17, v17, v14
	v_sub_f16_e32 v8, v8, v6
	v_add_f16_e32 v19, v19, v25
	v_add_f16_e32 v22, v22, v29
	v_sub_f16_e32 v18, v20, v18
	v_sub_f16_e32 v20, v23, v21
	v_mul_f16_e32 v11, 0x3846, v11
	v_add_f16_e32 v13, v13, v14
	v_mul_f16_e32 v14, 0x3a52, v16
	v_mul_f16_e32 v16, 0x2b26, v24
	;; [unrolled: 1-line block ×4, first 2 shown]
	v_add_f16_e32 v6, v7, v6
	v_mul_f16_e32 v7, 0xbb00, v17
	v_mul_f16_e32 v26, 0xbb00, v8
	v_add_f16_e32 v15, v15, v19
	v_add_f16_e32 v9, v9, v22
	v_mul_f16_e32 v23, 0x2b26, v28
	v_fmamk_f16 v29, v10, 0xb574, v11
	v_fmamk_f16 v24, v24, 0x2b26, v14
	;; [unrolled: 1-line block ×4, first 2 shown]
	v_fma_f16 v7, v10, 0x3574, -v7
	v_fma_f16 v10, v18, 0xb9e0, -v14
	;; [unrolled: 1-line block ×7, first 2 shown]
	v_fmamk_f16 v18, v19, 0xbcab, v15
	v_fmamk_f16 v19, v22, 0xbcab, v9
	v_fma_f16 v17, v20, 0x39e0, -v23
	v_fmac_f16_e32 v29, 0xb70e, v13
	v_fmac_f16_e32 v31, 0xb70e, v6
	;; [unrolled: 1-line block ×6, first 2 shown]
	v_pack_b32_f16 v6, v9, v15
	v_add_f16_e32 v9, v24, v18
	v_add_f16_e32 v13, v28, v19
	;; [unrolled: 1-line block ×8, first 2 shown]
	v_sub_f16_e32 v7, v10, v7
	v_sub_f16_e32 v9, v9, v29
	v_add_f16_e32 v10, v31, v13
	v_sub_f16_e32 v18, v13, v31
	v_sub_f16_e32 v20, v15, v11
	v_add_f16_e32 v11, v11, v15
	v_add_f16_e32 v13, v21, v14
	v_sub_f16_e32 v15, v16, v8
	v_add_f16_e32 v8, v8, v16
	v_sub_f16_e32 v14, v14, v21
	v_pack_b32_f16 v9, v10, v9
	v_pack_b32_f16 v7, v13, v7
	v_pack_b32_f16 v10, v15, v11
	v_pack_b32_f16 v8, v8, v20
	v_pack_b32_f16 v11, v14, v19
	v_pack_b32_f16 v13, v18, v17
	ds_store_2addr_b32 v0, v6, v9 offset1:160
	ds_store_2addr_b32 v12, v7, v10 offset0:64 offset1:224
	ds_store_2addr_b32 v27, v8, v11 offset1:160
	ds_store_b32 v0, v13 offset:3840
.LBB0_53:
	s_wait_alu 0xfffe
	s_or_b32 exec_lo, exec_lo, s1
	global_wb scope:SCOPE_SE
	s_wait_dscnt 0x0
	s_barrier_signal -1
	s_barrier_wait -1
	global_inv scope:SCOPE_SE
	s_and_saveexec_b32 s0, vcc_lo
	s_cbranch_execz .LBB0_55
; %bb.54:
	v_mul_lo_u32 v0, s3, v3
	v_mul_lo_u32 v7, s2, v4
	v_mad_co_u64_u32 v[3:4], null, s2, v3, 0
	v_mov_b32_e32 v6, 0
	v_lshl_add_u32 v15, v5, 2, 0
	ds_load_2addr_b32 v[9:10], v15 offset1:224
	v_add3_u32 v4, v4, v7, v0
	v_add_nc_u32_e32 v7, 0x1c0, v5
	v_lshlrev_b64_e32 v[0:1], 2, v[1:2]
	v_lshlrev_b64_e32 v[13:14], 2, v[5:6]
	v_add_nc_u32_e32 v2, 0xe0, v5
	v_lshlrev_b64_e32 v[11:12], 2, v[3:4]
	v_dual_mov_b32 v3, v6 :: v_dual_add_nc_u32 v4, 0x700, v15
	v_mov_b32_e32 v8, v6
	ds_load_b32 v15, v15 offset:3584
	v_add_co_u32 v11, vcc_lo, s6, v11
	s_wait_alu 0xfffd
	v_add_co_ci_u32_e32 v12, vcc_lo, s7, v12, vcc_lo
	v_lshlrev_b64_e32 v[2:3], 2, v[2:3]
	s_delay_alu instid0(VALU_DEP_3) | instskip(SKIP_1) | instid1(VALU_DEP_3)
	v_add_co_u32 v16, vcc_lo, v11, v0
	s_wait_alu 0xfffd
	v_add_co_ci_u32_e32 v17, vcc_lo, v12, v1, vcc_lo
	ds_load_2addr_b32 v[0:1], v4 offset1:224
	v_add_co_u32 v11, vcc_lo, v16, v13
	v_add_nc_u32_e32 v13, 0x2a0, v5
	s_wait_alu 0xfffd
	v_add_co_ci_u32_e32 v12, vcc_lo, v17, v14, vcc_lo
	v_dual_mov_b32 v14, v6 :: v_dual_add_nc_u32 v5, 0x380, v5
	v_lshlrev_b64_e32 v[7:8], 2, v[7:8]
	v_add_co_u32 v2, vcc_lo, v16, v2
	s_delay_alu instid0(VALU_DEP_3) | instskip(SKIP_2) | instid1(VALU_DEP_4)
	v_lshlrev_b64_e32 v[13:14], 2, v[13:14]
	s_wait_alu 0xfffd
	v_add_co_ci_u32_e32 v3, vcc_lo, v17, v3, vcc_lo
	v_add_co_u32 v7, vcc_lo, v16, v7
	v_lshlrev_b64_e32 v[4:5], 2, v[5:6]
	s_wait_alu 0xfffd
	v_add_co_ci_u32_e32 v8, vcc_lo, v17, v8, vcc_lo
	v_add_co_u32 v13, vcc_lo, v16, v13
	s_wait_alu 0xfffd
	v_add_co_ci_u32_e32 v14, vcc_lo, v17, v14, vcc_lo
	v_add_co_u32 v4, vcc_lo, v16, v4
	s_wait_alu 0xfffd
	v_add_co_ci_u32_e32 v5, vcc_lo, v17, v5, vcc_lo
	s_wait_dscnt 0x2
	s_clause 0x1
	global_store_b32 v[11:12], v9, off
	global_store_b32 v[2:3], v10, off
	s_wait_dscnt 0x0
	s_clause 0x2
	global_store_b32 v[7:8], v0, off
	global_store_b32 v[13:14], v1, off
	;; [unrolled: 1-line block ×3, first 2 shown]
.LBB0_55:
	s_nop 0
	s_sendmsg sendmsg(MSG_DEALLOC_VGPRS)
	s_endpgm
	.section	.rodata,"a",@progbits
	.p2align	6, 0x0
	.amdhsa_kernel fft_rtc_back_len1120_factors_2_2_2_2_2_5_7_wgs_224_tpt_224_halfLds_half_op_CI_CI_unitstride_sbrr_C2R_dirReg
		.amdhsa_group_segment_fixed_size 0
		.amdhsa_private_segment_fixed_size 0
		.amdhsa_kernarg_size 104
		.amdhsa_user_sgpr_count 2
		.amdhsa_user_sgpr_dispatch_ptr 0
		.amdhsa_user_sgpr_queue_ptr 0
		.amdhsa_user_sgpr_kernarg_segment_ptr 1
		.amdhsa_user_sgpr_dispatch_id 0
		.amdhsa_user_sgpr_private_segment_size 0
		.amdhsa_wavefront_size32 1
		.amdhsa_uses_dynamic_stack 0
		.amdhsa_enable_private_segment 0
		.amdhsa_system_sgpr_workgroup_id_x 1
		.amdhsa_system_sgpr_workgroup_id_y 0
		.amdhsa_system_sgpr_workgroup_id_z 0
		.amdhsa_system_sgpr_workgroup_info 0
		.amdhsa_system_vgpr_workitem_id 0
		.amdhsa_next_free_vgpr 40
		.amdhsa_next_free_sgpr 39
		.amdhsa_reserve_vcc 1
		.amdhsa_float_round_mode_32 0
		.amdhsa_float_round_mode_16_64 0
		.amdhsa_float_denorm_mode_32 3
		.amdhsa_float_denorm_mode_16_64 3
		.amdhsa_fp16_overflow 0
		.amdhsa_workgroup_processor_mode 1
		.amdhsa_memory_ordered 1
		.amdhsa_forward_progress 0
		.amdhsa_round_robin_scheduling 0
		.amdhsa_exception_fp_ieee_invalid_op 0
		.amdhsa_exception_fp_denorm_src 0
		.amdhsa_exception_fp_ieee_div_zero 0
		.amdhsa_exception_fp_ieee_overflow 0
		.amdhsa_exception_fp_ieee_underflow 0
		.amdhsa_exception_fp_ieee_inexact 0
		.amdhsa_exception_int_div_zero 0
	.end_amdhsa_kernel
	.text
.Lfunc_end0:
	.size	fft_rtc_back_len1120_factors_2_2_2_2_2_5_7_wgs_224_tpt_224_halfLds_half_op_CI_CI_unitstride_sbrr_C2R_dirReg, .Lfunc_end0-fft_rtc_back_len1120_factors_2_2_2_2_2_5_7_wgs_224_tpt_224_halfLds_half_op_CI_CI_unitstride_sbrr_C2R_dirReg
                                        ; -- End function
	.section	.AMDGPU.csdata,"",@progbits
; Kernel info:
; codeLenInByte = 6864
; NumSgprs: 41
; NumVgprs: 40
; ScratchSize: 0
; MemoryBound: 0
; FloatMode: 240
; IeeeMode: 1
; LDSByteSize: 0 bytes/workgroup (compile time only)
; SGPRBlocks: 5
; VGPRBlocks: 4
; NumSGPRsForWavesPerEU: 41
; NumVGPRsForWavesPerEU: 40
; Occupancy: 16
; WaveLimiterHint : 1
; COMPUTE_PGM_RSRC2:SCRATCH_EN: 0
; COMPUTE_PGM_RSRC2:USER_SGPR: 2
; COMPUTE_PGM_RSRC2:TRAP_HANDLER: 0
; COMPUTE_PGM_RSRC2:TGID_X_EN: 1
; COMPUTE_PGM_RSRC2:TGID_Y_EN: 0
; COMPUTE_PGM_RSRC2:TGID_Z_EN: 0
; COMPUTE_PGM_RSRC2:TIDIG_COMP_CNT: 0
	.text
	.p2alignl 7, 3214868480
	.fill 96, 4, 3214868480
	.type	__hip_cuid_ee9c332074a6bac4,@object ; @__hip_cuid_ee9c332074a6bac4
	.section	.bss,"aw",@nobits
	.globl	__hip_cuid_ee9c332074a6bac4
__hip_cuid_ee9c332074a6bac4:
	.byte	0                               ; 0x0
	.size	__hip_cuid_ee9c332074a6bac4, 1

	.ident	"AMD clang version 19.0.0git (https://github.com/RadeonOpenCompute/llvm-project roc-6.4.0 25133 c7fe45cf4b819c5991fe208aaa96edf142730f1d)"
	.section	".note.GNU-stack","",@progbits
	.addrsig
	.addrsig_sym __hip_cuid_ee9c332074a6bac4
	.amdgpu_metadata
---
amdhsa.kernels:
  - .args:
      - .actual_access:  read_only
        .address_space:  global
        .offset:         0
        .size:           8
        .value_kind:     global_buffer
      - .offset:         8
        .size:           8
        .value_kind:     by_value
      - .actual_access:  read_only
        .address_space:  global
        .offset:         16
        .size:           8
        .value_kind:     global_buffer
      - .actual_access:  read_only
        .address_space:  global
        .offset:         24
        .size:           8
        .value_kind:     global_buffer
      - .actual_access:  read_only
        .address_space:  global
        .offset:         32
        .size:           8
        .value_kind:     global_buffer
      - .offset:         40
        .size:           8
        .value_kind:     by_value
      - .actual_access:  read_only
        .address_space:  global
        .offset:         48
        .size:           8
        .value_kind:     global_buffer
      - .actual_access:  read_only
        .address_space:  global
        .offset:         56
        .size:           8
        .value_kind:     global_buffer
      - .offset:         64
        .size:           4
        .value_kind:     by_value
      - .actual_access:  read_only
        .address_space:  global
        .offset:         72
        .size:           8
        .value_kind:     global_buffer
      - .actual_access:  read_only
        .address_space:  global
        .offset:         80
        .size:           8
        .value_kind:     global_buffer
      - .actual_access:  read_only
        .address_space:  global
        .offset:         88
        .size:           8
        .value_kind:     global_buffer
      - .actual_access:  write_only
        .address_space:  global
        .offset:         96
        .size:           8
        .value_kind:     global_buffer
    .group_segment_fixed_size: 0
    .kernarg_segment_align: 8
    .kernarg_segment_size: 104
    .language:       OpenCL C
    .language_version:
      - 2
      - 0
    .max_flat_workgroup_size: 224
    .name:           fft_rtc_back_len1120_factors_2_2_2_2_2_5_7_wgs_224_tpt_224_halfLds_half_op_CI_CI_unitstride_sbrr_C2R_dirReg
    .private_segment_fixed_size: 0
    .sgpr_count:     41
    .sgpr_spill_count: 0
    .symbol:         fft_rtc_back_len1120_factors_2_2_2_2_2_5_7_wgs_224_tpt_224_halfLds_half_op_CI_CI_unitstride_sbrr_C2R_dirReg.kd
    .uniform_work_group_size: 1
    .uses_dynamic_stack: false
    .vgpr_count:     40
    .vgpr_spill_count: 0
    .wavefront_size: 32
    .workgroup_processor_mode: 1
amdhsa.target:   amdgcn-amd-amdhsa--gfx1201
amdhsa.version:
  - 1
  - 2
...

	.end_amdgpu_metadata
